;; amdgpu-corpus repo=ROCm/rocFFT kind=compiled arch=gfx906 opt=O3
	.text
	.amdgcn_target "amdgcn-amd-amdhsa--gfx906"
	.amdhsa_code_object_version 6
	.protected	fft_rtc_back_len1485_factors_3_5_11_3_3_wgs_165_tpt_165_dp_ip_CI_unitstride_sbrr_dirReg ; -- Begin function fft_rtc_back_len1485_factors_3_5_11_3_3_wgs_165_tpt_165_dp_ip_CI_unitstride_sbrr_dirReg
	.globl	fft_rtc_back_len1485_factors_3_5_11_3_3_wgs_165_tpt_165_dp_ip_CI_unitstride_sbrr_dirReg
	.p2align	8
	.type	fft_rtc_back_len1485_factors_3_5_11_3_3_wgs_165_tpt_165_dp_ip_CI_unitstride_sbrr_dirReg,@function
fft_rtc_back_len1485_factors_3_5_11_3_3_wgs_165_tpt_165_dp_ip_CI_unitstride_sbrr_dirReg: ; @fft_rtc_back_len1485_factors_3_5_11_3_3_wgs_165_tpt_165_dp_ip_CI_unitstride_sbrr_dirReg
; %bb.0:
	s_load_dwordx2 s[2:3], s[4:5], 0x50
	s_load_dwordx4 s[8:11], s[4:5], 0x0
	s_load_dwordx2 s[12:13], s[4:5], 0x18
	v_mul_u32_u24_e32 v1, 0x18e, v0
	v_add_u32_sdwa v5, s6, v1 dst_sel:DWORD dst_unused:UNUSED_PAD src0_sel:DWORD src1_sel:WORD_1
	v_mov_b32_e32 v3, 0
	s_waitcnt lgkmcnt(0)
	v_cmp_lt_u64_e64 s[0:1], s[10:11], 2
	v_mov_b32_e32 v1, 0
	v_mov_b32_e32 v6, v3
	s_and_b64 vcc, exec, s[0:1]
	v_mov_b32_e32 v2, 0
	s_cbranch_vccnz .LBB0_8
; %bb.1:
	s_load_dwordx2 s[0:1], s[4:5], 0x10
	s_add_u32 s6, s12, 8
	s_addc_u32 s7, s13, 0
	v_mov_b32_e32 v1, 0
	v_mov_b32_e32 v2, 0
	s_waitcnt lgkmcnt(0)
	s_add_u32 s14, s0, 8
	s_addc_u32 s15, s1, 0
	s_mov_b64 s[16:17], 1
.LBB0_2:                                ; =>This Inner Loop Header: Depth=1
	s_load_dwordx2 s[18:19], s[14:15], 0x0
                                        ; implicit-def: $vgpr7_vgpr8
	s_waitcnt lgkmcnt(0)
	v_or_b32_e32 v4, s19, v6
	v_cmp_ne_u64_e32 vcc, 0, v[3:4]
	s_and_saveexec_b64 s[0:1], vcc
	s_xor_b64 s[20:21], exec, s[0:1]
	s_cbranch_execz .LBB0_4
; %bb.3:                                ;   in Loop: Header=BB0_2 Depth=1
	v_cvt_f32_u32_e32 v4, s18
	v_cvt_f32_u32_e32 v7, s19
	s_sub_u32 s0, 0, s18
	s_subb_u32 s1, 0, s19
	v_mac_f32_e32 v4, 0x4f800000, v7
	v_rcp_f32_e32 v4, v4
	v_mul_f32_e32 v4, 0x5f7ffffc, v4
	v_mul_f32_e32 v7, 0x2f800000, v4
	v_trunc_f32_e32 v7, v7
	v_mac_f32_e32 v4, 0xcf800000, v7
	v_cvt_u32_f32_e32 v7, v7
	v_cvt_u32_f32_e32 v4, v4
	v_mul_lo_u32 v8, s0, v7
	v_mul_hi_u32 v9, s0, v4
	v_mul_lo_u32 v11, s1, v4
	v_mul_lo_u32 v10, s0, v4
	v_add_u32_e32 v8, v9, v8
	v_add_u32_e32 v8, v8, v11
	v_mul_hi_u32 v9, v4, v10
	v_mul_lo_u32 v11, v4, v8
	v_mul_hi_u32 v13, v4, v8
	v_mul_hi_u32 v12, v7, v10
	v_mul_lo_u32 v10, v7, v10
	v_mul_hi_u32 v14, v7, v8
	v_add_co_u32_e32 v9, vcc, v9, v11
	v_addc_co_u32_e32 v11, vcc, 0, v13, vcc
	v_mul_lo_u32 v8, v7, v8
	v_add_co_u32_e32 v9, vcc, v9, v10
	v_addc_co_u32_e32 v9, vcc, v11, v12, vcc
	v_addc_co_u32_e32 v10, vcc, 0, v14, vcc
	v_add_co_u32_e32 v8, vcc, v9, v8
	v_addc_co_u32_e32 v9, vcc, 0, v10, vcc
	v_add_co_u32_e32 v4, vcc, v4, v8
	v_addc_co_u32_e32 v7, vcc, v7, v9, vcc
	v_mul_lo_u32 v8, s0, v7
	v_mul_hi_u32 v9, s0, v4
	v_mul_lo_u32 v10, s1, v4
	v_mul_lo_u32 v11, s0, v4
	v_add_u32_e32 v8, v9, v8
	v_add_u32_e32 v8, v8, v10
	v_mul_lo_u32 v12, v4, v8
	v_mul_hi_u32 v13, v4, v11
	v_mul_hi_u32 v14, v4, v8
	;; [unrolled: 1-line block ×3, first 2 shown]
	v_mul_lo_u32 v11, v7, v11
	v_mul_hi_u32 v9, v7, v8
	v_add_co_u32_e32 v12, vcc, v13, v12
	v_addc_co_u32_e32 v13, vcc, 0, v14, vcc
	v_mul_lo_u32 v8, v7, v8
	v_add_co_u32_e32 v11, vcc, v12, v11
	v_addc_co_u32_e32 v10, vcc, v13, v10, vcc
	v_addc_co_u32_e32 v9, vcc, 0, v9, vcc
	v_add_co_u32_e32 v8, vcc, v10, v8
	v_addc_co_u32_e32 v9, vcc, 0, v9, vcc
	v_add_co_u32_e32 v4, vcc, v4, v8
	v_addc_co_u32_e32 v9, vcc, v7, v9, vcc
	v_mad_u64_u32 v[7:8], s[0:1], v5, v9, 0
	v_mul_hi_u32 v10, v5, v4
	v_add_co_u32_e32 v11, vcc, v10, v7
	v_addc_co_u32_e32 v12, vcc, 0, v8, vcc
	v_mad_u64_u32 v[7:8], s[0:1], v6, v4, 0
	v_mad_u64_u32 v[9:10], s[0:1], v6, v9, 0
	v_add_co_u32_e32 v4, vcc, v11, v7
	v_addc_co_u32_e32 v4, vcc, v12, v8, vcc
	v_addc_co_u32_e32 v7, vcc, 0, v10, vcc
	v_add_co_u32_e32 v4, vcc, v4, v9
	v_addc_co_u32_e32 v9, vcc, 0, v7, vcc
	v_mul_lo_u32 v10, s19, v4
	v_mul_lo_u32 v11, s18, v9
	v_mad_u64_u32 v[7:8], s[0:1], s18, v4, 0
	v_add3_u32 v8, v8, v11, v10
	v_sub_u32_e32 v10, v6, v8
	v_mov_b32_e32 v11, s19
	v_sub_co_u32_e32 v7, vcc, v5, v7
	v_subb_co_u32_e64 v10, s[0:1], v10, v11, vcc
	v_subrev_co_u32_e64 v11, s[0:1], s18, v7
	v_subbrev_co_u32_e64 v10, s[0:1], 0, v10, s[0:1]
	v_cmp_le_u32_e64 s[0:1], s19, v10
	v_cndmask_b32_e64 v12, 0, -1, s[0:1]
	v_cmp_le_u32_e64 s[0:1], s18, v11
	v_cndmask_b32_e64 v11, 0, -1, s[0:1]
	v_cmp_eq_u32_e64 s[0:1], s19, v10
	v_cndmask_b32_e64 v10, v12, v11, s[0:1]
	v_add_co_u32_e64 v11, s[0:1], 2, v4
	v_addc_co_u32_e64 v12, s[0:1], 0, v9, s[0:1]
	v_add_co_u32_e64 v13, s[0:1], 1, v4
	v_addc_co_u32_e64 v14, s[0:1], 0, v9, s[0:1]
	v_subb_co_u32_e32 v8, vcc, v6, v8, vcc
	v_cmp_ne_u32_e64 s[0:1], 0, v10
	v_cmp_le_u32_e32 vcc, s19, v8
	v_cndmask_b32_e64 v10, v14, v12, s[0:1]
	v_cndmask_b32_e64 v12, 0, -1, vcc
	v_cmp_le_u32_e32 vcc, s18, v7
	v_cndmask_b32_e64 v7, 0, -1, vcc
	v_cmp_eq_u32_e32 vcc, s19, v8
	v_cndmask_b32_e32 v7, v12, v7, vcc
	v_cmp_ne_u32_e32 vcc, 0, v7
	v_cndmask_b32_e64 v7, v13, v11, s[0:1]
	v_cndmask_b32_e32 v8, v9, v10, vcc
	v_cndmask_b32_e32 v7, v4, v7, vcc
.LBB0_4:                                ;   in Loop: Header=BB0_2 Depth=1
	s_andn2_saveexec_b64 s[0:1], s[20:21]
	s_cbranch_execz .LBB0_6
; %bb.5:                                ;   in Loop: Header=BB0_2 Depth=1
	v_cvt_f32_u32_e32 v4, s18
	s_sub_i32 s20, 0, s18
	v_rcp_iflag_f32_e32 v4, v4
	v_mul_f32_e32 v4, 0x4f7ffffe, v4
	v_cvt_u32_f32_e32 v4, v4
	v_mul_lo_u32 v7, s20, v4
	v_mul_hi_u32 v7, v4, v7
	v_add_u32_e32 v4, v4, v7
	v_mul_hi_u32 v4, v5, v4
	v_mul_lo_u32 v7, v4, s18
	v_add_u32_e32 v8, 1, v4
	v_sub_u32_e32 v7, v5, v7
	v_subrev_u32_e32 v9, s18, v7
	v_cmp_le_u32_e32 vcc, s18, v7
	v_cndmask_b32_e32 v7, v7, v9, vcc
	v_cndmask_b32_e32 v4, v4, v8, vcc
	v_add_u32_e32 v8, 1, v4
	v_cmp_le_u32_e32 vcc, s18, v7
	v_cndmask_b32_e32 v7, v4, v8, vcc
	v_mov_b32_e32 v8, v3
.LBB0_6:                                ;   in Loop: Header=BB0_2 Depth=1
	s_or_b64 exec, exec, s[0:1]
	v_mul_lo_u32 v4, v8, s18
	v_mul_lo_u32 v11, v7, s19
	v_mad_u64_u32 v[9:10], s[0:1], v7, s18, 0
	s_load_dwordx2 s[0:1], s[6:7], 0x0
	s_add_u32 s16, s16, 1
	v_add3_u32 v4, v10, v11, v4
	v_sub_co_u32_e32 v5, vcc, v5, v9
	v_subb_co_u32_e32 v4, vcc, v6, v4, vcc
	s_waitcnt lgkmcnt(0)
	v_mul_lo_u32 v4, s0, v4
	v_mul_lo_u32 v6, s1, v5
	v_mad_u64_u32 v[1:2], s[0:1], s0, v5, v[1:2]
	s_addc_u32 s17, s17, 0
	s_add_u32 s6, s6, 8
	v_add3_u32 v2, v6, v2, v4
	v_mov_b32_e32 v4, s10
	v_mov_b32_e32 v5, s11
	s_addc_u32 s7, s7, 0
	v_cmp_ge_u64_e32 vcc, s[16:17], v[4:5]
	s_add_u32 s14, s14, 8
	s_addc_u32 s15, s15, 0
	s_cbranch_vccnz .LBB0_9
; %bb.7:                                ;   in Loop: Header=BB0_2 Depth=1
	v_mov_b32_e32 v5, v7
	v_mov_b32_e32 v6, v8
	s_branch .LBB0_2
.LBB0_8:
	v_mov_b32_e32 v8, v6
	v_mov_b32_e32 v7, v5
.LBB0_9:
	s_lshl_b64 s[0:1], s[10:11], 3
	s_add_u32 s0, s12, s0
	s_addc_u32 s1, s13, s1
	s_load_dwordx2 s[6:7], s[0:1], 0x0
	s_load_dwordx2 s[10:11], s[4:5], 0x20
                                        ; implicit-def: $vgpr10_vgpr11
                                        ; implicit-def: $vgpr14_vgpr15
                                        ; implicit-def: $vgpr18_vgpr19
                                        ; implicit-def: $vgpr22_vgpr23
                                        ; implicit-def: $vgpr26_vgpr27
                                        ; implicit-def: $vgpr34_vgpr35
                                        ; implicit-def: $vgpr30_vgpr31
	s_waitcnt lgkmcnt(0)
	v_mad_u64_u32 v[1:2], s[0:1], s6, v7, v[1:2]
	v_mul_lo_u32 v3, s6, v8
	v_mul_lo_u32 v4, s7, v7
	s_mov_b32 s0, 0x18d3019
	v_mul_hi_u32 v5, v0, s0
	v_cmp_gt_u64_e64 s[0:1], s[10:11], v[7:8]
	v_add3_u32 v2, v4, v2, v3
	v_lshlrev_b64 v[46:47], 4, v[1:2]
	v_mul_u32_u24_e32 v3, 0xa5, v5
	v_sub_u32_e32 v44, v0, v3
                                        ; implicit-def: $vgpr2_vgpr3
                                        ; implicit-def: $vgpr6_vgpr7
	s_and_saveexec_b64 s[4:5], s[0:1]
	s_cbranch_execz .LBB0_11
; %bb.10:
	v_mov_b32_e32 v45, 0
	v_mov_b32_e32 v0, s3
	v_add_co_u32_e32 v2, vcc, s2, v46
	v_addc_co_u32_e32 v3, vcc, v0, v47, vcc
	v_lshlrev_b64 v[0:1], 4, v[44:45]
	s_movk_i32 s6, 0x1000
	v_add_co_u32_e32 v36, vcc, v2, v0
	v_addc_co_u32_e32 v37, vcc, v3, v1, vcc
	v_add_co_u32_e32 v38, vcc, s6, v36
	v_addc_co_u32_e32 v39, vcc, 0, v37, vcc
	s_movk_i32 s6, 0x3000
	v_add_co_u32_e32 v40, vcc, s6, v36
	v_addc_co_u32_e32 v41, vcc, 0, v37, vcc
	s_movk_i32 s6, 0x2000
	;; [unrolled: 3-line block ×3, first 2 shown]
	v_add_co_u32_e32 v48, vcc, s6, v36
	v_addc_co_u32_e32 v49, vcc, 0, v37, vcc
	v_add_co_u32_e32 v50, vcc, 0x5000, v36
	v_addc_co_u32_e32 v51, vcc, 0, v37, vcc
	global_load_dwordx4 v[28:31], v[36:37], off
	global_load_dwordx4 v[20:23], v[36:37], off offset:2640
	global_load_dwordx4 v[16:19], v[42:43], off offset:2368
	;; [unrolled: 1-line block ×8, first 2 shown]
.LBB0_11:
	s_or_b64 exec, exec, s[4:5]
	s_waitcnt vmcnt(2)
	v_add_f64 v[36:37], v[24:25], v[32:33]
	v_add_f64 v[38:39], v[26:27], v[34:35]
	v_add_f64 v[40:41], v[32:33], v[28:29]
	v_add_f64 v[42:43], v[34:35], v[30:31]
	v_add_f64 v[34:35], v[34:35], -v[26:27]
	v_add_f64 v[48:49], v[32:33], -v[24:25]
	s_mov_b32 s4, 0xe8584caa
	v_add_f64 v[50:51], v[12:13], v[16:17]
	v_fma_f64 v[36:37], v[36:37], -0.5, v[28:29]
	v_fma_f64 v[38:39], v[38:39], -0.5, v[30:31]
	v_add_f64 v[28:29], v[24:25], v[40:41]
	v_add_f64 v[24:25], v[14:15], v[18:19]
	s_mov_b32 s5, 0xbfebb67a
	s_mov_b32 s7, 0x3febb67a
	s_mov_b32 s6, s4
	v_add_f64 v[30:31], v[26:27], v[42:43]
	v_fma_f64 v[32:33], v[34:35], s[4:5], v[36:37]
	v_fma_f64 v[36:37], v[34:35], s[6:7], v[36:37]
	;; [unrolled: 1-line block ×3, first 2 shown]
	v_add_f64 v[26:27], v[16:17], v[20:21]
	v_add_f64 v[40:41], v[18:19], v[22:23]
	v_fma_f64 v[38:39], v[48:49], s[4:5], v[38:39]
	s_waitcnt vmcnt(0)
	v_add_f64 v[48:49], v[0:1], v[4:5]
	v_fma_f64 v[24:25], v[24:25], -0.5, v[22:23]
	v_add_f64 v[22:23], v[2:3], v[6:7]
	v_fma_f64 v[20:21], v[50:51], -0.5, v[20:21]
	v_add_f64 v[42:43], v[18:19], -v[14:15]
	v_add_f64 v[50:51], v[16:17], -v[12:13]
	v_add_f64 v[16:17], v[12:13], v[26:27]
	v_add_f64 v[18:19], v[14:15], v[40:41]
	;; [unrolled: 1-line block ×3, first 2 shown]
	v_fma_f64 v[14:15], v[48:49], -0.5, v[8:9]
	v_add_f64 v[8:9], v[6:7], v[10:11]
	v_add_f64 v[26:27], v[6:7], -v[2:3]
	v_fma_f64 v[48:49], v[22:23], -0.5, v[10:11]
	v_add_f64 v[52:53], v[4:5], -v[0:1]
	v_fma_f64 v[40:41], v[42:43], s[4:5], v[20:21]
	v_fma_f64 v[22:23], v[42:43], s[6:7], v[20:21]
	;; [unrolled: 1-line block ×4, first 2 shown]
	v_add_f64 v[4:5], v[0:1], v[12:13]
	v_add_f64 v[6:7], v[2:3], v[8:9]
	v_mad_u32_u24 v0, v44, 48, 0
	v_lshlrev_b32_e32 v1, 5, v44
	v_fma_f64 v[8:9], v[26:27], s[4:5], v[14:15]
	v_fma_f64 v[10:11], v[52:53], s[6:7], v[48:49]
	v_sub_u32_e32 v45, v0, v1
	v_fma_f64 v[12:13], v[26:27], s[6:7], v[14:15]
	v_fma_f64 v[14:15], v[52:53], s[4:5], v[48:49]
	ds_write_b128 v0, v[28:31]
	ds_write_b128 v0, v[32:35] offset:16
	ds_write_b128 v0, v[36:39] offset:32
	;; [unrolled: 1-line block ×8, first 2 shown]
	s_waitcnt lgkmcnt(0)
	s_barrier
	ds_read_b128 v[0:3], v45
	ds_read_b128 v[34:37], v45 offset:4752
	ds_read_b128 v[30:33], v45 offset:9504
	;; [unrolled: 1-line block ×4, first 2 shown]
	s_movk_i32 s4, 0x84
	v_cmp_gt_u32_e32 vcc, s4, v44
                                        ; implicit-def: $vgpr40_vgpr41
	s_and_saveexec_b64 s[4:5], vcc
	s_cbranch_execz .LBB0_13
; %bb.12:
	ds_read_b128 v[22:25], v45 offset:2640
	ds_read_b128 v[4:7], v45 offset:7392
	;; [unrolled: 1-line block ×5, first 2 shown]
.LBB0_13:
	s_or_b64 exec, exec, s[4:5]
	s_movk_i32 s4, 0xab
	v_mul_lo_u16_sdwa v20, v44, s4 dst_sel:DWORD dst_unused:UNUSED_PAD src0_sel:BYTE_0 src1_sel:DWORD
	v_lshrrev_b16_e32 v101, 9, v20
	v_mul_lo_u16_e32 v20, 3, v101
	v_sub_u16_e32 v102, v44, v20
	v_mov_b32_e32 v20, 6
	v_lshlrev_b32_sdwa v20, v20, v102 dst_sel:DWORD dst_unused:UNUSED_PAD src0_sel:DWORD src1_sel:BYTE_0
	global_load_dwordx4 v[48:51], v20, s[8:9]
	global_load_dwordx4 v[52:55], v20, s[8:9] offset:16
	global_load_dwordx4 v[56:59], v20, s[8:9] offset:32
	;; [unrolled: 1-line block ×3, first 2 shown]
	s_mov_b32 s4, 0xaaab
	v_add_u32_e32 v92, 0xa5, v44
	v_mul_u32_u24_sdwa v20, v92, s4 dst_sel:DWORD dst_unused:UNUSED_PAD src0_sel:WORD_0 src1_sel:DWORD
	v_lshrrev_b32_e32 v42, 17, v20
	v_mul_lo_u16_e32 v20, 3, v42
	v_sub_u16_e32 v43, v92, v20
	v_lshlrev_b32_e32 v20, 6, v43
	global_load_dwordx4 v[64:67], v20, s[8:9]
	global_load_dwordx4 v[68:71], v20, s[8:9] offset:16
	global_load_dwordx4 v[72:75], v20, s[8:9] offset:32
	;; [unrolled: 1-line block ×3, first 2 shown]
	s_mov_b32 s14, 0x134454ff
	s_mov_b32 s15, 0xbfee6f0e
	;; [unrolled: 1-line block ×10, first 2 shown]
	s_waitcnt vmcnt(0) lgkmcnt(0)
	s_barrier
	v_mul_f64 v[20:21], v[36:37], v[50:51]
	v_mul_f64 v[50:51], v[34:35], v[50:51]
	;; [unrolled: 1-line block ×14, first 2 shown]
	v_fma_f64 v[20:21], v[34:35], v[48:49], v[20:21]
	v_fma_f64 v[34:35], v[36:37], v[48:49], -v[50:51]
	v_fma_f64 v[30:31], v[30:31], v[52:53], v[80:81]
	v_fma_f64 v[32:33], v[32:33], v[52:53], -v[54:55]
	;; [unrolled: 2-line block ×4, first 2 shown]
	v_mul_f64 v[93:94], v[40:41], v[78:79]
	v_fma_f64 v[36:37], v[4:5], v[64:65], v[86:87]
	v_fma_f64 v[48:49], v[6:7], v[64:65], -v[66:67]
	v_fma_f64 v[50:51], v[8:9], v[68:69], v[88:89]
	v_fma_f64 v[52:53], v[10:11], v[68:69], -v[70:71]
	;; [unrolled: 2-line block ×3, first 2 shown]
	v_add_f64 v[4:5], v[20:21], -v[30:31]
	v_add_f64 v[6:7], v[16:17], -v[26:27]
	;; [unrolled: 1-line block ×4, first 2 shown]
	v_add_f64 v[12:13], v[30:31], v[26:27]
	v_add_f64 v[14:15], v[32:33], v[28:29]
	;; [unrolled: 1-line block ×6, first 2 shown]
	v_mul_f64 v[78:79], v[38:39], v[78:79]
	v_fma_f64 v[58:59], v[38:39], v[76:77], v[93:94]
	v_add_f64 v[38:39], v[34:35], -v[18:19]
	v_add_f64 v[60:61], v[32:33], -v[28:29]
	;; [unrolled: 1-line block ×4, first 2 shown]
	v_add_f64 v[99:100], v[4:5], v[6:7]
	v_add_f64 v[8:9], v[8:9], v[10:11]
	v_fma_f64 v[4:5], v[12:13], -0.5, v[0:1]
	v_fma_f64 v[6:7], v[14:15], -0.5, v[2:3]
	;; [unrolled: 1-line block ×4, first 2 shown]
	v_add_f64 v[10:11], v[70:71], v[30:31]
	v_add_f64 v[12:13], v[72:73], v[32:33]
	v_fma_f64 v[40:41], v[40:41], v[76:77], -v[78:79]
	v_add_f64 v[20:21], v[30:31], -v[20:21]
	v_add_f64 v[34:35], v[32:33], -v[34:35]
	;; [unrolled: 1-line block ×4, first 2 shown]
	v_add_f64 v[88:89], v[52:53], v[56:57]
	v_fma_f64 v[66:67], v[38:39], s[14:15], v[4:5]
	v_fma_f64 v[68:69], v[62:63], s[12:13], v[6:7]
	;; [unrolled: 1-line block ×4, first 2 shown]
	v_add_f64 v[10:11], v[10:11], v[26:27]
	v_add_f64 v[12:13], v[12:13], v[28:29]
	v_fma_f64 v[26:27], v[60:61], s[12:13], v[0:1]
	v_fma_f64 v[28:29], v[60:61], s[14:15], v[0:1]
	;; [unrolled: 1-line block ×3, first 2 shown]
	v_add_f64 v[95:96], v[36:37], -v[58:59]
	v_add_f64 v[14:15], v[20:21], v[74:75]
	v_add_f64 v[20:21], v[34:35], v[76:77]
	v_fma_f64 v[34:35], v[88:89], -0.5, v[24:25]
	v_fma_f64 v[72:73], v[64:65], s[12:13], v[2:3]
	v_fma_f64 v[66:67], v[60:61], s[4:5], v[66:67]
	v_fma_f64 v[68:69], v[64:65], s[6:7], v[68:69]
	v_fma_f64 v[60:61], v[60:61], s[6:7], v[4:5]
	v_fma_f64 v[64:65], v[64:65], s[4:5], v[6:7]
	v_add_f64 v[0:1], v[10:11], v[16:17]
	v_add_f64 v[2:3], v[12:13], v[18:19]
	v_fma_f64 v[10:11], v[38:39], s[4:5], v[26:27]
	v_fma_f64 v[12:13], v[62:63], s[6:7], v[70:71]
	v_fma_f64 v[26:27], v[38:39], s[6:7], v[28:29]
	v_add_f64 v[82:83], v[48:49], -v[52:53]
	v_add_f64 v[84:85], v[40:41], -v[56:57]
	v_add_f64 v[86:87], v[50:51], v[54:55]
	v_add_f64 v[97:98], v[50:51], -v[54:55]
	v_fma_f64 v[76:77], v[95:96], s[12:13], v[34:35]
	v_fma_f64 v[28:29], v[62:63], s[4:5], v[72:73]
	v_fma_f64 v[6:7], v[8:9], s[10:11], v[68:69]
	v_fma_f64 v[16:17], v[99:100], s[10:11], v[60:61]
	v_fma_f64 v[18:19], v[8:9], s[10:11], v[64:65]
	v_fma_f64 v[8:9], v[14:15], s[10:11], v[10:11]
	v_fma_f64 v[10:11], v[20:21], s[10:11], v[12:13]
	v_fma_f64 v[12:13], v[14:15], s[10:11], v[26:27]
	v_add_f64 v[26:27], v[36:37], v[58:59]
	v_add_f64 v[60:61], v[48:49], v[40:41]
	v_add_f64 v[90:91], v[48:49], -v[40:41]
	v_add_f64 v[93:94], v[52:53], -v[56:57]
	v_fma_f64 v[32:33], v[86:87], -0.5, v[22:23]
	v_fma_f64 v[14:15], v[20:21], s[10:11], v[28:29]
	v_add_f64 v[28:29], v[82:83], v[84:85]
	v_fma_f64 v[38:39], v[97:98], s[6:7], v[76:77]
	v_add_f64 v[62:63], v[22:23], v[36:37]
	v_fma_f64 v[26:27], v[26:27], -0.5, v[22:23]
	v_add_f64 v[64:65], v[24:25], v[48:49]
	v_fma_f64 v[24:25], v[60:61], -0.5, v[24:25]
	v_add_f64 v[78:79], v[36:37], -v[50:51]
	v_add_f64 v[80:81], v[58:59], -v[54:55]
	v_fma_f64 v[74:75], v[90:91], s[14:15], v[32:33]
	v_fma_f64 v[32:33], v[90:91], s[12:13], v[32:33]
	;; [unrolled: 1-line block ×4, first 2 shown]
	v_add_f64 v[38:39], v[62:63], v[50:51]
	v_add_f64 v[36:37], v[50:51], -v[36:37]
	v_fma_f64 v[50:51], v[93:94], s[12:13], v[26:27]
	v_add_f64 v[60:61], v[64:65], v[52:53]
	v_add_f64 v[62:63], v[54:55], -v[58:59]
	v_add_f64 v[48:49], v[52:53], -v[48:49]
	;; [unrolled: 1-line block ×3, first 2 shown]
	v_fma_f64 v[64:65], v[97:98], s[14:15], v[24:25]
	v_fma_f64 v[26:27], v[93:94], s[14:15], v[26:27]
	;; [unrolled: 1-line block ×3, first 2 shown]
	v_add_f64 v[30:31], v[78:79], v[80:81]
	v_fma_f64 v[20:21], v[93:94], s[4:5], v[74:75]
	v_fma_f64 v[32:33], v[93:94], s[6:7], v[32:33]
	;; [unrolled: 1-line block ×3, first 2 shown]
	v_add_f64 v[54:55], v[38:39], v[54:55]
	v_add_f64 v[56:57], v[60:61], v[56:57]
	v_add_f64 v[60:61], v[36:37], v[62:63]
	v_fma_f64 v[50:51], v[90:91], s[4:5], v[50:51]
	v_add_f64 v[48:49], v[48:49], v[52:53]
	v_fma_f64 v[52:53], v[95:96], s[6:7], v[64:65]
	v_fma_f64 v[62:63], v[90:91], s[6:7], v[26:27]
	;; [unrolled: 1-line block ×7, first 2 shown]
	v_add_f64 v[24:25], v[54:55], v[58:59]
	v_add_f64 v[26:27], v[56:57], v[40:41]
	v_fma_f64 v[28:29], v[60:61], s[10:11], v[50:51]
	v_fma_f64 v[30:31], v[48:49], s[10:11], v[52:53]
	;; [unrolled: 1-line block ×4, first 2 shown]
	v_mov_b32_e32 v40, 4
	v_lshlrev_b32_sdwa v40, v40, v102 dst_sel:DWORD dst_unused:UNUSED_PAD src0_sel:DWORD src1_sel:BYTE_0
	v_mul_u32_u24_e32 v41, 0xf0, v101
	v_add3_u32 v40, 0, v41, v40
	ds_write_b128 v40, v[0:3]
	ds_write_b128 v40, v[4:7] offset:48
	ds_write_b128 v40, v[8:11] offset:96
	;; [unrolled: 1-line block ×4, first 2 shown]
	s_and_saveexec_b64 s[4:5], vcc
	s_cbranch_execz .LBB0_15
; %bb.14:
	v_mul_lo_u16_e32 v40, 15, v42
	v_lshlrev_b32_e32 v41, 4, v43
	v_lshlrev_b32_e32 v40, 4, v40
	v_add3_u32 v40, 0, v41, v40
	ds_write_b128 v40, v[24:27]
	ds_write_b128 v40, v[20:23] offset:48
	ds_write_b128 v40, v[28:31] offset:96
	;; [unrolled: 1-line block ×4, first 2 shown]
.LBB0_15:
	s_or_b64 exec, exec, s[4:5]
	s_movk_i32 s4, 0x87
	v_cmp_gt_u32_e32 vcc, s4, v44
	s_waitcnt lgkmcnt(0)
	s_barrier
	s_waitcnt lgkmcnt(0)
                                        ; implicit-def: $vgpr42_vgpr43
	s_and_saveexec_b64 s[4:5], vcc
	s_cbranch_execz .LBB0_17
; %bb.16:
	ds_read_b128 v[0:3], v45
	ds_read_b128 v[4:7], v45 offset:2160
	ds_read_b128 v[8:11], v45 offset:4320
	;; [unrolled: 1-line block ×10, first 2 shown]
.LBB0_17:
	s_or_b64 exec, exec, s[4:5]
	s_waitcnt lgkmcnt(0)
	s_barrier
	s_and_saveexec_b64 s[4:5], vcc
	s_cbranch_execz .LBB0_19
; %bb.18:
	s_movk_i32 s6, 0x89
	v_mul_lo_u16_sdwa v48, v44, s6 dst_sel:DWORD dst_unused:UNUSED_PAD src0_sel:BYTE_0 src1_sel:DWORD
	v_lshrrev_b16_e32 v93, 11, v48
	v_mul_lo_u16_e32 v48, 15, v93
	v_sub_u16_e32 v94, v44, v48
	v_mov_b32_e32 v48, 10
	v_mul_u32_u24_sdwa v48, v94, v48 dst_sel:DWORD dst_unused:UNUSED_PAD src0_sel:BYTE_0 src1_sel:DWORD
	v_lshlrev_b32_e32 v52, 4, v48
	global_load_dwordx4 v[48:51], v52, s[8:9] offset:256
	global_load_dwordx4 v[54:57], v52, s[8:9] offset:272
	;; [unrolled: 1-line block ×10, first 2 shown]
	s_mov_b32 s10, 0xfd768dbf
	s_mov_b32 s11, 0xbfd207e7
	;; [unrolled: 1-line block ×26, first 2 shown]
	s_waitcnt vmcnt(9)
	v_mul_f64 v[52:53], v[26:27], v[50:51]
	v_mul_f64 v[62:63], v[24:25], v[50:51]
	s_waitcnt vmcnt(8)
	v_mul_f64 v[72:73], v[22:23], v[56:57]
	v_mul_f64 v[56:57], v[20:21], v[56:57]
	;; [unrolled: 3-line block ×5, first 2 shown]
	v_mul_f64 v[99:100], v[10:11], v[66:67]
	v_mul_f64 v[66:67], v[8:9], v[66:67]
	s_waitcnt vmcnt(3)
	v_mul_f64 v[107:108], v[38:39], v[80:81]
	s_waitcnt vmcnt(2)
	v_mul_f64 v[109:110], v[30:31], v[84:85]
	v_mul_f64 v[111:112], v[36:37], v[80:81]
	;; [unrolled: 1-line block ×3, first 2 shown]
	v_fma_f64 v[50:51], v[24:25], v[48:49], v[52:53]
	v_fma_f64 v[52:53], v[26:27], v[48:49], -v[62:63]
	v_fma_f64 v[24:25], v[20:21], v[54:55], v[72:73]
	v_fma_f64 v[48:49], v[22:23], v[54:55], -v[56:57]
	;; [unrolled: 2-line block ×5, first 2 shown]
	s_waitcnt vmcnt(1)
	v_mul_f64 v[115:116], v[14:15], v[88:89]
	s_waitcnt vmcnt(0)
	v_mul_f64 v[117:118], v[34:35], v[97:98]
	v_mul_f64 v[88:89], v[12:13], v[88:89]
	v_mul_f64 v[97:98], v[32:33], v[97:98]
	v_fma_f64 v[72:73], v[8:9], v[64:65], v[99:100]
	v_fma_f64 v[76:77], v[10:11], v[64:65], -v[66:67]
	v_fma_f64 v[20:21], v[36:37], v[78:79], v[107:108]
	v_fma_f64 v[22:23], v[38:39], v[78:79], -v[111:112]
	v_add_f64 v[107:108], v[80:81], -v[16:17]
	v_add_f64 v[111:112], v[84:85], -v[18:19]
	v_fma_f64 v[70:71], v[12:13], v[86:87], v[115:116]
	v_fma_f64 v[74:75], v[14:15], v[86:87], -v[88:89]
	v_fma_f64 v[12:13], v[32:33], v[95:96], v[117:118]
	v_fma_f64 v[14:15], v[34:35], v[95:96], -v[97:98]
	v_add_f64 v[86:87], v[72:73], -v[20:21]
	v_add_f64 v[90:91], v[84:85], v[18:19]
	v_add_f64 v[68:69], v[76:77], -v[22:23]
	v_add_f64 v[88:89], v[80:81], v[16:17]
	v_mul_f64 v[4:5], v[107:108], s[10:11]
	v_mul_f64 v[6:7], v[111:112], s[10:11]
	v_fma_f64 v[26:27], v[28:29], v[82:83], v[109:110]
	v_fma_f64 v[28:29], v[30:31], v[82:83], -v[113:114]
	v_add_f64 v[66:67], v[76:77], v[22:23]
	v_add_f64 v[58:59], v[72:73], v[20:21]
	v_add_f64 v[82:83], v[70:71], -v[12:13]
	v_add_f64 v[64:65], v[74:75], -v[14:15]
	v_mul_f64 v[8:9], v[86:87], s[26:27]
	v_mul_f64 v[10:11], v[68:69], s[26:27]
	v_fma_f64 v[121:122], v[90:91], s[6:7], v[4:5]
	v_fma_f64 v[123:124], v[88:89], s[6:7], -v[6:7]
	v_fma_f64 v[4:5], v[90:91], s[6:7], -v[4:5]
	v_add_f64 v[60:61], v[74:75], v[14:15]
	v_add_f64 v[56:57], v[70:71], v[12:13]
	v_add_f64 v[78:79], v[54:55], -v[26:27]
	v_mul_f64 v[95:96], v[82:83], s[16:17]
	v_mul_f64 v[97:98], v[64:65], s[16:17]
	v_fma_f64 v[125:126], v[66:67], s[12:13], v[8:9]
	v_fma_f64 v[6:7], v[88:89], s[6:7], v[6:7]
	v_fma_f64 v[127:128], v[58:59], s[12:13], -v[10:11]
	v_fma_f64 v[8:9], v[66:67], s[12:13], -v[8:9]
	v_add_f64 v[121:122], v[2:3], v[121:122]
	v_add_f64 v[123:124], v[0:1], v[123:124]
	;; [unrolled: 1-line block ×4, first 2 shown]
	v_add_f64 v[36:37], v[62:63], -v[28:29]
	v_add_f64 v[40:41], v[50:51], -v[24:25]
	v_mul_f64 v[99:100], v[78:79], s[24:25]
	v_mul_f64 v[117:118], v[111:112], s[16:17]
	v_fma_f64 v[10:11], v[58:59], s[12:13], v[10:11]
	v_fma_f64 v[133:134], v[60:61], s[14:15], v[95:96]
	v_fma_f64 v[135:136], v[56:57], s[14:15], -v[97:98]
	v_fma_f64 v[95:96], v[60:61], s[14:15], -v[95:96]
	v_add_f64 v[6:7], v[0:1], v[6:7]
	v_add_f64 v[121:122], v[125:126], v[121:122]
	;; [unrolled: 1-line block ×6, first 2 shown]
	v_add_f64 v[38:39], v[52:53], -v[48:49]
	v_mul_f64 v[101:102], v[107:108], s[16:17]
	v_mul_f64 v[105:106], v[36:37], s[24:25]
	;; [unrolled: 1-line block ×4, first 2 shown]
	v_fma_f64 v[97:98], v[56:57], s[14:15], v[97:98]
	v_fma_f64 v[125:126], v[42:43], s[18:19], v[99:100]
	v_fma_f64 v[99:100], v[42:43], s[18:19], -v[99:100]
	v_add_f64 v[6:7], v[10:11], v[6:7]
	v_add_f64 v[10:11], v[133:134], v[121:122]
	;; [unrolled: 1-line block ×4, first 2 shown]
	v_fma_f64 v[123:124], v[88:89], s[14:15], -v[117:118]
	v_add_f64 v[30:31], v[50:51], v[24:25]
	v_mul_f64 v[103:104], v[86:87], s[30:31]
	v_mul_f64 v[113:114], v[38:39], s[22:23]
	v_fma_f64 v[129:130], v[90:91], s[14:15], v[101:102]
	v_fma_f64 v[8:9], v[34:35], s[18:19], -v[105:106]
	v_fma_f64 v[105:106], v[34:35], s[18:19], v[105:106]
	v_fma_f64 v[95:96], v[32:33], s[20:21], v[109:110]
	v_add_f64 v[6:7], v[97:98], v[6:7]
	v_add_f64 v[10:11], v[125:126], v[10:11]
	;; [unrolled: 1-line block ×4, first 2 shown]
	v_fma_f64 v[123:124], v[58:59], s[20:21], -v[119:120]
	v_mul_f64 v[125:126], v[64:65], s[28:29]
	v_mul_f64 v[115:116], v[82:83], s[28:29]
	v_fma_f64 v[131:132], v[66:67], s[20:21], v[103:104]
	v_add_f64 v[127:128], v[2:3], v[129:130]
	v_add_f64 v[8:9], v[8:9], v[121:122]
	v_fma_f64 v[97:98], v[30:31], s[20:21], -v[113:114]
	v_add_f64 v[105:106], v[105:106], v[6:7]
	v_add_f64 v[6:7], v[95:96], v[10:11]
	v_fma_f64 v[10:11], v[90:91], s[14:15], -v[101:102]
	v_add_f64 v[95:96], v[123:124], v[4:5]
	v_fma_f64 v[101:102], v[56:57], s[12:13], -v[125:126]
	v_mul_f64 v[123:124], v[36:37], s[10:11]
	v_add_f64 v[127:128], v[131:132], v[127:128]
	v_mul_f64 v[121:122], v[78:79], s[10:11]
	v_fma_f64 v[109:110], v[32:33], s[20:21], -v[109:110]
	v_fma_f64 v[113:114], v[30:31], s[20:21], v[113:114]
	v_fma_f64 v[129:130], v[60:61], s[12:13], v[115:116]
	v_add_f64 v[4:5], v[97:98], v[8:9]
	v_fma_f64 v[8:9], v[88:89], s[14:15], v[117:118]
	v_fma_f64 v[103:104], v[66:67], s[20:21], -v[103:104]
	v_add_f64 v[117:118], v[2:3], v[10:11]
	v_add_f64 v[95:96], v[101:102], v[95:96]
	v_fma_f64 v[101:102], v[34:35], s[6:7], -v[123:124]
	v_add_f64 v[10:11], v[109:110], v[99:100]
	v_add_f64 v[97:98], v[129:130], v[127:128]
	v_fma_f64 v[127:128], v[42:43], s[6:7], v[121:122]
	v_fma_f64 v[99:100], v[58:59], s[20:21], v[119:120]
	v_add_f64 v[109:110], v[0:1], v[8:9]
	v_add_f64 v[8:9], v[113:114], v[105:106]
	;; [unrolled: 1-line block ×3, first 2 shown]
	v_fma_f64 v[105:106], v[60:61], s[12:13], -v[115:116]
	v_add_f64 v[95:96], v[101:102], v[95:96]
	v_mul_f64 v[101:102], v[40:41], s[24:25]
	v_mul_f64 v[113:114], v[107:108], s[22:23]
	;; [unrolled: 1-line block ×3, first 2 shown]
	v_add_f64 v[97:98], v[127:128], v[97:98]
	v_add_f64 v[99:100], v[99:100], v[109:110]
	v_fma_f64 v[109:110], v[56:57], s[12:13], v[125:126]
	v_add_f64 v[103:104], v[105:106], v[103:104]
	v_mul_f64 v[119:120], v[86:87], s[34:35]
	v_fma_f64 v[125:126], v[32:33], s[18:19], v[101:102]
	v_fma_f64 v[105:106], v[90:91], s[20:21], v[113:114]
	v_fma_f64 v[127:128], v[88:89], s[20:21], -v[117:118]
	v_mul_f64 v[129:130], v[68:69], s[34:35]
	v_mul_f64 v[115:116], v[38:39], s[24:25]
	v_add_f64 v[99:100], v[109:110], v[99:100]
	v_fma_f64 v[121:122], v[42:43], s[6:7], -v[121:122]
	v_fma_f64 v[131:132], v[66:67], s[6:7], v[119:120]
	v_mul_f64 v[133:134], v[82:83], s[24:25]
	v_add_f64 v[105:106], v[2:3], v[105:106]
	v_fma_f64 v[123:124], v[34:35], s[6:7], v[123:124]
	v_add_f64 v[97:98], v[125:126], v[97:98]
	v_add_f64 v[125:126], v[0:1], v[127:128]
	v_fma_f64 v[127:128], v[58:59], s[6:7], -v[129:130]
	v_mul_f64 v[135:136], v[64:65], s[24:25]
	v_fma_f64 v[109:110], v[30:31], s[18:19], -v[115:116]
	v_add_f64 v[103:104], v[121:122], v[103:104]
	v_add_f64 v[105:106], v[131:132], v[105:106]
	v_fma_f64 v[121:122], v[60:61], s[18:19], v[133:134]
	v_mul_f64 v[131:132], v[78:79], s[28:29]
	v_add_f64 v[99:100], v[123:124], v[99:100]
	v_fma_f64 v[101:102], v[32:33], s[18:19], -v[101:102]
	v_add_f64 v[123:124], v[127:128], v[125:126]
	v_fma_f64 v[125:126], v[56:57], s[18:19], -v[135:136]
	v_mul_f64 v[127:128], v[36:37], s[28:29]
	v_fma_f64 v[115:116], v[30:31], s[18:19], v[115:116]
	v_add_f64 v[105:106], v[121:122], v[105:106]
	v_fma_f64 v[121:122], v[42:43], s[12:13], v[131:132]
	v_add_f64 v[95:96], v[109:110], v[95:96]
	v_mul_f64 v[109:110], v[40:41], s[16:17]
	v_add_f64 v[101:102], v[101:102], v[103:104]
	v_add_f64 v[103:104], v[125:126], v[123:124]
	v_fma_f64 v[123:124], v[34:35], s[12:13], -v[127:128]
	v_mul_f64 v[125:126], v[38:39], s[16:17]
	s_mov_b32 s25, 0xbfed1bb4
	v_add_f64 v[99:100], v[115:116], v[99:100]
	v_add_f64 v[105:106], v[121:122], v[105:106]
	v_fma_f64 v[113:114], v[90:91], s[20:21], -v[113:114]
	v_fma_f64 v[115:116], v[32:33], s[14:15], v[109:110]
	v_mul_f64 v[121:122], v[107:108], s[24:25]
	v_add_f64 v[103:104], v[123:124], v[103:104]
	v_fma_f64 v[123:124], v[30:31], s[14:15], -v[125:126]
	v_mul_f64 v[137:138], v[111:112], s[24:25]
	v_fma_f64 v[119:120], v[66:67], s[6:7], -v[119:120]
	v_mul_f64 v[139:140], v[86:87], s[16:17]
	v_add_f64 v[113:114], v[2:3], v[113:114]
	v_add_f64 v[105:106], v[115:116], v[105:106]
	v_fma_f64 v[115:116], v[88:89], s[20:21], v[117:118]
	v_fma_f64 v[117:118], v[90:91], s[18:19], v[121:122]
	v_add_f64 v[103:104], v[123:124], v[103:104]
	v_fma_f64 v[123:124], v[88:89], s[18:19], -v[137:138]
	v_mul_f64 v[141:142], v[68:69], s[16:17]
	v_add_f64 v[84:85], v[2:3], v[84:85]
	v_add_f64 v[80:81], v[0:1], v[80:81]
	;; [unrolled: 1-line block ×3, first 2 shown]
	v_fma_f64 v[119:120], v[58:59], s[6:7], v[129:130]
	v_add_f64 v[115:116], v[0:1], v[115:116]
	v_add_f64 v[117:118], v[2:3], v[117:118]
	v_fma_f64 v[129:130], v[66:67], s[14:15], v[139:140]
	v_mul_f64 v[143:144], v[82:83], s[34:35]
	v_add_f64 v[123:124], v[0:1], v[123:124]
	v_fma_f64 v[145:146], v[58:59], s[14:15], -v[141:142]
	v_mul_f64 v[147:148], v[64:65], s[34:35]
	v_add_f64 v[76:77], v[84:85], v[76:77]
	v_add_f64 v[72:73], v[80:81], v[72:73]
	v_fma_f64 v[133:134], v[60:61], s[18:19], -v[133:134]
	v_add_f64 v[115:116], v[119:120], v[115:116]
	v_fma_f64 v[119:120], v[56:57], s[18:19], v[135:136]
	v_add_f64 v[117:118], v[129:130], v[117:118]
	v_fma_f64 v[129:130], v[60:61], s[6:7], v[143:144]
	v_mul_f64 v[135:136], v[78:79], s[30:31]
	v_add_f64 v[123:124], v[145:146], v[123:124]
	v_fma_f64 v[145:146], v[56:57], s[6:7], -v[147:148]
	v_mul_f64 v[149:150], v[36:37], s[30:31]
	v_add_f64 v[74:75], v[76:77], v[74:75]
	v_add_f64 v[70:71], v[72:73], v[70:71]
	;; [unrolled: 1-line block ×3, first 2 shown]
	v_fma_f64 v[131:132], v[42:43], s[12:13], -v[131:132]
	v_add_f64 v[115:116], v[119:120], v[115:116]
	v_fma_f64 v[119:120], v[34:35], s[12:13], v[127:128]
	v_add_f64 v[117:118], v[129:130], v[117:118]
	v_fma_f64 v[127:128], v[42:43], s[20:21], v[135:136]
	v_add_f64 v[123:124], v[145:146], v[123:124]
	v_fma_f64 v[129:130], v[34:35], s[20:21], -v[149:150]
	v_mul_f64 v[133:134], v[40:41], s[26:27]
	v_add_f64 v[62:63], v[74:75], v[62:63]
	v_add_f64 v[54:55], v[70:71], v[54:55]
	v_mul_f64 v[145:146], v[38:39], s[26:27]
	v_add_f64 v[113:114], v[131:132], v[113:114]
	v_fma_f64 v[109:110], v[32:33], s[14:15], -v[109:110]
	v_add_f64 v[115:116], v[119:120], v[115:116]
	v_fma_f64 v[119:120], v[30:31], s[14:15], v[125:126]
	v_add_f64 v[117:118], v[127:128], v[117:118]
	v_add_f64 v[123:124], v[129:130], v[123:124]
	v_fma_f64 v[125:126], v[32:33], s[12:13], v[133:134]
	v_mul_f64 v[129:130], v[107:108], s[28:29]
	v_mul_f64 v[131:132], v[111:112], s[28:29]
	v_add_f64 v[52:53], v[62:63], v[52:53]
	v_add_f64 v[50:51], v[54:55], v[50:51]
	v_fma_f64 v[127:128], v[30:31], s[12:13], -v[145:146]
	v_add_f64 v[109:110], v[109:110], v[113:114]
	v_fma_f64 v[121:122], v[90:91], s[18:19], -v[121:122]
	v_add_f64 v[107:108], v[119:120], v[115:116]
	v_fma_f64 v[115:116], v[88:89], s[18:19], v[137:138]
	v_add_f64 v[113:114], v[125:126], v[117:118]
	v_fma_f64 v[117:118], v[90:91], s[12:13], v[129:130]
	v_fma_f64 v[90:91], v[90:91], s[12:13], -v[129:130]
	v_fma_f64 v[119:120], v[88:89], s[12:13], -v[131:132]
	v_fma_f64 v[88:89], v[88:89], s[12:13], v[131:132]
	v_mul_f64 v[86:87], v[86:87], s[24:25]
	v_mul_f64 v[68:69], v[68:69], s[24:25]
	v_add_f64 v[48:49], v[52:53], v[48:49]
	v_add_f64 v[24:25], v[50:51], v[24:25]
	;; [unrolled: 1-line block ×4, first 2 shown]
	v_fma_f64 v[123:124], v[66:67], s[14:15], -v[139:140]
	v_add_f64 v[115:116], v[0:1], v[115:116]
	v_add_f64 v[117:118], v[2:3], v[117:118]
	v_fma_f64 v[84:85], v[66:67], s[18:19], v[86:87]
	v_mul_f64 v[80:81], v[82:83], s[22:23]
	v_add_f64 v[82:83], v[0:1], v[119:120]
	v_add_f64 v[2:3], v[2:3], v[90:91]
	;; [unrolled: 1-line block ×3, first 2 shown]
	v_fma_f64 v[66:67], v[66:67], s[18:19], -v[86:87]
	v_fma_f64 v[62:63], v[58:59], s[18:19], v[68:69]
	v_mul_f64 v[54:55], v[64:65], s[22:23]
	v_fma_f64 v[125:126], v[58:59], s[14:15], v[141:142]
	v_fma_f64 v[58:59], v[58:59], s[18:19], -v[68:69]
	v_add_f64 v[28:29], v[48:49], v[28:29]
	v_add_f64 v[24:25], v[24:25], v[26:27]
	v_add_f64 v[121:122], v[123:124], v[121:122]
	v_fma_f64 v[123:124], v[60:61], s[6:7], -v[143:144]
	v_add_f64 v[76:77], v[84:85], v[117:118]
	v_fma_f64 v[72:73], v[60:61], s[20:21], v[80:81]
	v_mul_f64 v[78:79], v[78:79], s[16:17]
	v_fma_f64 v[60:61], v[60:61], s[20:21], -v[80:81]
	v_add_f64 v[2:3], v[66:67], v[2:3]
	v_add_f64 v[0:1], v[62:63], v[0:1]
	v_fma_f64 v[50:51], v[56:57], s[20:21], v[54:55]
	v_mul_f64 v[26:27], v[36:37], s[16:17]
	v_add_f64 v[115:116], v[125:126], v[115:116]
	v_fma_f64 v[125:126], v[56:57], s[6:7], v[147:148]
	v_fma_f64 v[52:53], v[56:57], s[20:21], -v[54:55]
	v_add_f64 v[54:55], v[58:59], v[82:83]
	v_add_f64 v[14:15], v[28:29], v[14:15]
	;; [unrolled: 1-line block ×3, first 2 shown]
	v_fma_f64 v[84:85], v[42:43], s[20:21], -v[135:136]
	v_add_f64 v[70:71], v[72:73], v[76:77]
	v_fma_f64 v[72:73], v[42:43], s[14:15], v[78:79]
	v_fma_f64 v[42:43], v[42:43], s[14:15], -v[78:79]
	v_add_f64 v[2:3], v[60:61], v[2:3]
	v_mul_f64 v[40:41], v[40:41], s[10:11]
	v_add_f64 v[0:1], v[50:51], v[0:1]
	v_mul_f64 v[38:39], v[38:39], s[10:11]
	v_fma_f64 v[24:25], v[34:35], s[14:15], v[26:27]
	v_add_f64 v[90:91], v[123:124], v[121:122]
	v_add_f64 v[115:116], v[125:126], v[115:116]
	v_fma_f64 v[117:118], v[34:35], s[20:21], v[149:150]
	v_fma_f64 v[26:27], v[34:35], s[14:15], -v[26:27]
	v_add_f64 v[34:35], v[52:53], v[54:55]
	v_add_f64 v[22:23], v[14:15], v[22:23]
	;; [unrolled: 1-line block ×3, first 2 shown]
	v_fma_f64 v[36:37], v[32:33], s[12:13], -v[133:134]
	v_fma_f64 v[28:29], v[32:33], s[6:7], v[40:41]
	v_fma_f64 v[32:33], v[32:33], s[6:7], -v[40:41]
	v_add_f64 v[40:41], v[42:43], v[2:3]
	v_fma_f64 v[42:43], v[30:31], s[6:7], v[38:39]
	v_add_f64 v[20:21], v[24:25], v[0:1]
	v_add_f64 v[74:75], v[84:85], v[90:91]
	;; [unrolled: 1-line block ×3, first 2 shown]
	v_fma_f64 v[48:49], v[30:31], s[12:13], v[145:146]
	v_fma_f64 v[24:25], v[30:31], s[6:7], -v[38:39]
	v_add_f64 v[26:27], v[26:27], v[34:35]
	v_add_f64 v[64:65], v[72:73], v[70:71]
	;; [unrolled: 1-line block ×9, first 2 shown]
	v_mov_b32_e32 v25, 4
	v_mul_u32_u24_e32 v24, 0xa50, v93
	v_lshlrev_b32_sdwa v25, v25, v94 dst_sel:DWORD dst_unused:UNUSED_PAD src0_sel:DWORD src1_sel:BYTE_0
	v_add3_u32 v24, 0, v24, v25
	v_add_f64 v[22:23], v[28:29], v[64:65]
	ds_write_b128 v24, v[16:19]
	ds_write_b128 v24, v[12:15] offset:240
	ds_write_b128 v24, v[0:3] offset:480
	;; [unrolled: 1-line block ×10, first 2 shown]
.LBB0_19:
	s_or_b64 exec, exec, s[4:5]
	v_lshlrev_b32_e32 v0, 1, v44
	v_mov_b32_e32 v1, 0
	v_lshlrev_b64 v[2:3], 4, v[0:1]
	v_add_u32_e32 v4, 0x14a, v44
	v_mov_b32_e32 v0, s9
	v_add_co_u32_e32 v2, vcc, s8, v2
	s_mov_b32 s4, 0x8d31
	v_addc_co_u32_e32 v3, vcc, v0, v3, vcc
	v_mul_u32_u24_sdwa v0, v4, s4 dst_sel:DWORD dst_unused:UNUSED_PAD src0_sel:WORD_0 src1_sel:DWORD
	v_sub_u16_sdwa v5, v4, v0 dst_sel:DWORD dst_unused:UNUSED_PAD src0_sel:DWORD src1_sel:WORD_1
	v_lshrrev_b16_e32 v5, 1, v5
	s_waitcnt lgkmcnt(0)
	s_barrier
	global_load_dwordx4 v[6:9], v[2:3], off offset:2608
	global_load_dwordx4 v[10:13], v[2:3], off offset:2592
	v_add_u16_sdwa v0, v5, v0 dst_sel:DWORD dst_unused:UNUSED_PAD src0_sel:DWORD src1_sel:WORD_1
	v_lshrrev_b16_e32 v0, 7, v0
	v_mul_lo_u16_e32 v0, 0xa5, v0
	v_sub_u16_e32 v0, v4, v0
	v_lshlrev_b32_e32 v5, 5, v0
	global_load_dwordx4 v[14:17], v5, s[8:9] offset:2592
	global_load_dwordx4 v[18:21], v5, s[8:9] offset:2608
	ds_read_b128 v[22:25], v45
	ds_read_b128 v[26:29], v45 offset:7920
	ds_read_b128 v[30:33], v45 offset:15840
	;; [unrolled: 1-line block ×5, first 2 shown]
	v_lshl_add_u32 v5, v44, 4, 0
	ds_read_b128 v[52:55], v5 offset:5280
	ds_read_b128 v[56:59], v5 offset:2640
	;; [unrolled: 1-line block ×3, first 2 shown]
	s_mov_b32 s4, 0xe8584caa
	s_mov_b32 s5, 0xbfebb67a
	;; [unrolled: 1-line block ×4, first 2 shown]
	s_waitcnt vmcnt(0) lgkmcnt(0)
	s_barrier
	v_lshl_add_u32 v0, v0, 4, 0
	v_mul_f64 v[66:67], v[32:33], v[8:9]
	v_mul_f64 v[42:43], v[28:29], v[12:13]
	;; [unrolled: 1-line block ×12, first 2 shown]
	v_fma_f64 v[26:27], v[26:27], v[10:11], v[42:43]
	v_fma_f64 v[28:29], v[28:29], v[10:11], -v[64:65]
	v_fma_f64 v[30:31], v[30:31], v[6:7], v[66:67]
	v_fma_f64 v[32:33], v[32:33], v[6:7], -v[68:69]
	;; [unrolled: 2-line block ×6, first 2 shown]
	v_add_f64 v[20:21], v[26:27], v[30:31]
	v_add_f64 v[36:37], v[28:29], -v[32:33]
	v_add_f64 v[40:41], v[24:25], v[28:29]
	v_add_f64 v[28:29], v[28:29], v[32:33]
	;; [unrolled: 1-line block ×9, first 2 shown]
	v_add_f64 v[26:27], v[26:27], -v[30:31]
	v_fma_f64 v[20:21], v[20:21], -0.5, v[22:23]
	v_fma_f64 v[24:25], v[28:29], -0.5, v[24:25]
	v_add_f64 v[50:51], v[10:11], -v[34:35]
	v_add_f64 v[38:39], v[38:39], -v[12:13]
	;; [unrolled: 1-line block ×3, first 2 shown]
	v_add_f64 v[70:71], v[54:55], v[8:9]
	v_add_f64 v[8:9], v[40:41], v[32:33]
	v_fma_f64 v[28:29], v[48:49], -0.5, v[56:57]
	v_fma_f64 v[32:33], v[62:63], -0.5, v[58:59]
	v_add_f64 v[64:65], v[52:53], v[6:7]
	v_add_f64 v[74:75], v[6:7], -v[14:15]
	v_add_f64 v[6:7], v[18:19], v[30:31]
	v_add_f64 v[10:11], v[42:43], v[12:13]
	;; [unrolled: 1-line block ×3, first 2 shown]
	v_fma_f64 v[34:35], v[66:67], -0.5, v[52:53]
	v_fma_f64 v[40:41], v[72:73], -0.5, v[54:55]
	v_fma_f64 v[18:19], v[36:37], s[4:5], v[20:21]
	v_fma_f64 v[22:23], v[36:37], s[6:7], v[20:21]
	;; [unrolled: 1-line block ×8, first 2 shown]
	v_add_f64 v[14:15], v[64:65], v[14:15]
	v_add_f64 v[16:17], v[70:71], v[16:17]
	ds_write_b128 v45, v[6:9]
	v_fma_f64 v[6:7], v[68:69], s[4:5], v[34:35]
	v_fma_f64 v[8:9], v[74:75], s[6:7], v[40:41]
	;; [unrolled: 1-line block ×4, first 2 shown]
	ds_write_b128 v45, v[10:13] offset:7920
	ds_write_b128 v45, v[18:21] offset:2640
	;; [unrolled: 1-line block ×8, first 2 shown]
	s_waitcnt lgkmcnt(0)
	s_barrier
	s_and_saveexec_b64 s[10:11], s[0:1]
	s_cbranch_execz .LBB0_21
; %bb.20:
	v_lshlrev_b32_e32 v0, 1, v4
	v_lshlrev_b64 v[6:7], 4, v[0:1]
	v_mov_b32_e32 v8, s9
	v_add_co_u32_e32 v0, vcc, s8, v6
	v_addc_co_u32_e32 v24, vcc, v8, v7, vcc
	s_movk_i32 s10, 0x1ec0
	v_add_co_u32_e32 v30, vcc, s10, v0
	v_addc_co_u32_e32 v31, vcc, 0, v24, vcc
	s_movk_i32 s9, 0x1000
	v_add_co_u32_e32 v32, vcc, s9, v0
	v_lshlrev_b32_e32 v0, 1, v92
	v_lshlrev_b64 v[6:7], 4, v[0:1]
	v_addc_co_u32_e32 v33, vcc, 0, v24, vcc
	v_add_co_u32_e64 v0, s[0:1], s8, v6
	v_addc_co_u32_e64 v16, s[0:1], v8, v7, s[0:1]
	v_add_co_u32_e64 v22, s[0:1], s10, v0
	v_addc_co_u32_e64 v23, s[0:1], 0, v16, s[0:1]
	;; [unrolled: 2-line block ×4, first 2 shown]
	global_load_dwordx4 v[6:9], v[2:3], off offset:3776
	global_load_dwordx4 v[10:13], v[14:15], off offset:16
	v_add_co_u32_e64 v2, s[0:1], s9, v0
	v_addc_co_u32_e64 v3, s[0:1], 0, v16, s[0:1]
	global_load_dwordx4 v[14:17], v[2:3], off offset:3776
	global_load_dwordx4 v[18:21], v[22:23], off offset:16
	s_nop 0
	global_load_dwordx4 v[22:25], v[32:33], off offset:3776
	global_load_dwordx4 v[26:29], v[30:31], off offset:16
	ds_read_b128 v[30:33], v5 offset:5280
	ds_read_b128 v[34:37], v45
	ds_read_b128 v[38:41], v45 offset:7920
	ds_read_b128 v[48:51], v45 offset:18480
	;; [unrolled: 1-line block ×7, first 2 shown]
	v_mov_b32_e32 v45, v1
	v_mov_b32_e32 v0, s3
	s_mov_b32 s1, 0x21195767
	s_movk_i32 s0, 0x3000
	s_waitcnt vmcnt(5) lgkmcnt(6)
	v_mul_f64 v[2:3], v[8:9], v[38:39]
	s_waitcnt vmcnt(4) lgkmcnt(4)
	v_mul_f64 v[42:43], v[12:13], v[52:53]
	v_mul_f64 v[38:39], v[6:7], v[38:39]
	;; [unrolled: 1-line block ×3, first 2 shown]
	s_waitcnt vmcnt(3) lgkmcnt(0)
	v_mul_f64 v[72:73], v[16:17], v[68:69]
	s_waitcnt vmcnt(2)
	v_mul_f64 v[74:75], v[20:21], v[48:49]
	v_mul_f64 v[68:69], v[14:15], v[68:69]
	;; [unrolled: 1-line block ×3, first 2 shown]
	s_waitcnt vmcnt(1)
	v_mul_f64 v[76:77], v[24:25], v[64:65]
	s_waitcnt vmcnt(0)
	v_mul_f64 v[78:79], v[28:29], v[56:57]
	v_mul_f64 v[64:65], v[22:23], v[64:65]
	;; [unrolled: 1-line block ×3, first 2 shown]
	v_fma_f64 v[2:3], v[6:7], v[40:41], -v[2:3]
	v_fma_f64 v[5:6], v[10:11], v[54:55], -v[42:43]
	v_fma_f64 v[7:8], v[40:41], v[8:9], v[38:39]
	v_fma_f64 v[41:42], v[54:55], v[12:13], v[52:53]
	v_fma_f64 v[9:10], v[14:15], v[70:71], -v[72:73]
	v_fma_f64 v[11:12], v[18:19], v[50:51], -v[74:75]
	v_fma_f64 v[13:14], v[70:71], v[16:17], v[68:69]
	v_fma_f64 v[15:16], v[50:51], v[20:21], v[48:49]
	;; [unrolled: 4-line block ×3, first 2 shown]
	v_add_f64 v[38:39], v[36:37], v[2:3]
	v_add_f64 v[48:49], v[7:8], v[41:42]
	;; [unrolled: 1-line block ×3, first 2 shown]
	v_add_f64 v[27:28], v[7:8], -v[41:42]
	v_add_f64 v[2:3], v[2:3], -v[5:6]
	v_add_f64 v[50:51], v[7:8], v[34:35]
	v_add_f64 v[52:53], v[9:10], v[11:12]
	v_add_f64 v[54:55], v[13:14], -v[15:16]
	v_add_f64 v[56:57], v[62:63], v[9:10]
	v_add_f64 v[58:59], v[9:10], -v[11:12]
	v_add_f64 v[9:10], v[13:14], v[15:16]
	v_add_f64 v[13:14], v[13:14], v[60:61]
	;; [unrolled: 1-line block ×3, first 2 shown]
	v_add_f64 v[66:67], v[21:22], -v[23:24]
	v_add_f64 v[68:69], v[32:33], v[17:18]
	v_add_f64 v[70:71], v[17:18], -v[19:20]
	v_add_f64 v[17:18], v[21:22], v[23:24]
	v_add_f64 v[21:22], v[21:22], v[30:31]
	;; [unrolled: 1-line block ×3, first 2 shown]
	v_fma_f64 v[5:6], v[48:49], -0.5, v[34:35]
	v_fma_f64 v[25:26], v[25:26], -0.5, v[36:37]
	;; [unrolled: 1-line block ×3, first 2 shown]
	v_add_f64 v[9:10], v[15:16], v[13:14]
	v_add_f64 v[15:16], v[68:69], v[19:20]
	v_fma_f64 v[48:49], v[17:18], -0.5, v[30:31]
	v_add_f64 v[13:14], v[23:24], v[21:22]
	v_fma_f64 v[34:35], v[52:53], -0.5, v[62:63]
	v_fma_f64 v[17:18], v[2:3], s[6:7], v[5:6]
	v_fma_f64 v[21:22], v[2:3], s[4:5], v[5:6]
	v_add_f64 v[5:6], v[41:42], v[50:51]
	v_fma_f64 v[23:24], v[27:28], s[6:7], v[25:26]
	v_fma_f64 v[19:20], v[27:28], s[4:5], v[25:26]
	v_add_co_u32_e32 v41, vcc, s2, v46
	v_lshlrev_b64 v[2:3], 4, v[44:45]
	v_addc_co_u32_e32 v42, vcc, v0, v47, vcc
	v_add_co_u32_e32 v2, vcc, v41, v2
	v_mul_hi_u32 v0, v92, s1
	v_addc_co_u32_e32 v3, vcc, v42, v3, vcc
	global_store_dwordx4 v[2:3], v[5:8], off
	v_add_f64 v[11:12], v[56:57], v[11:12]
	v_add_co_u32_e32 v5, vcc, s9, v2
	v_addc_co_u32_e32 v6, vcc, 0, v3, vcc
	v_fma_f64 v[38:39], v[64:65], -0.5, v[32:33]
	global_store_dwordx4 v[5:6], v[21:24], off offset:3824
	v_add_co_u32_e32 v5, vcc, s0, v2
	v_lshrrev_b32_e32 v0, 6, v0
	v_addc_co_u32_e32 v6, vcc, 0, v3, vcc
	v_mul_u32_u24_e32 v0, 0x3de, v0
	global_store_dwordx4 v[5:6], v[17:20], off offset:3552
	v_lshlrev_b64 v[5:6], 4, v[0:1]
	v_mul_hi_u32 v0, v4, s1
	v_fma_f64 v[27:28], v[54:55], s[4:5], v[34:35]
	v_fma_f64 v[25:26], v[58:59], s[6:7], v[36:37]
	v_add_co_u32_e32 v2, vcc, v2, v5
	v_addc_co_u32_e32 v3, vcc, v3, v6, vcc
	s_movk_i32 s2, 0x2000
	v_fma_f64 v[31:32], v[54:55], s[6:7], v[34:35]
	v_fma_f64 v[29:30], v[58:59], s[4:5], v[36:37]
	s_movk_i32 s0, 0x3de
	v_add_co_u32_e32 v5, vcc, s2, v2
	v_lshrrev_b32_e32 v0, 6, v0
	v_addc_co_u32_e32 v6, vcc, 0, v3, vcc
	s_movk_i32 s2, 0x4000
	v_mad_u32_u24 v0, v0, s0, v4
	v_fma_f64 v[35:36], v[66:67], s[4:5], v[38:39]
	v_fma_f64 v[39:40], v[66:67], s[6:7], v[38:39]
	;; [unrolled: 1-line block ×4, first 2 shown]
	global_store_dwordx4 v[2:3], v[9:12], off offset:2640
	v_add_co_u32_e32 v2, vcc, s2, v2
	v_lshlrev_b64 v[0:1], 4, v[0:1]
	v_addc_co_u32_e32 v3, vcc, 0, v3, vcc
	v_add_co_u32_e32 v0, vcc, v41, v0
	v_addc_co_u32_e32 v1, vcc, v42, v1, vcc
	global_store_dwordx4 v[2:3], v[25:28], off offset:2096
	v_add_co_u32_e32 v2, vcc, 0x1000, v0
	v_addc_co_u32_e32 v3, vcc, 0, v1, vcc
	global_store_dwordx4 v[5:6], v[29:32], off offset:2368
	global_store_dwordx4 v[0:1], v[13:16], off
	v_add_co_u32_e32 v0, vcc, 0x3000, v0
	v_addc_co_u32_e32 v1, vcc, 0, v1, vcc
	global_store_dwordx4 v[2:3], v[37:40], off offset:3824
	global_store_dwordx4 v[0:1], v[33:36], off offset:3552
.LBB0_21:
	s_endpgm
	.section	.rodata,"a",@progbits
	.p2align	6, 0x0
	.amdhsa_kernel fft_rtc_back_len1485_factors_3_5_11_3_3_wgs_165_tpt_165_dp_ip_CI_unitstride_sbrr_dirReg
		.amdhsa_group_segment_fixed_size 0
		.amdhsa_private_segment_fixed_size 0
		.amdhsa_kernarg_size 88
		.amdhsa_user_sgpr_count 6
		.amdhsa_user_sgpr_private_segment_buffer 1
		.amdhsa_user_sgpr_dispatch_ptr 0
		.amdhsa_user_sgpr_queue_ptr 0
		.amdhsa_user_sgpr_kernarg_segment_ptr 1
		.amdhsa_user_sgpr_dispatch_id 0
		.amdhsa_user_sgpr_flat_scratch_init 0
		.amdhsa_user_sgpr_private_segment_size 0
		.amdhsa_uses_dynamic_stack 0
		.amdhsa_system_sgpr_private_segment_wavefront_offset 0
		.amdhsa_system_sgpr_workgroup_id_x 1
		.amdhsa_system_sgpr_workgroup_id_y 0
		.amdhsa_system_sgpr_workgroup_id_z 0
		.amdhsa_system_sgpr_workgroup_info 0
		.amdhsa_system_vgpr_workitem_id 0
		.amdhsa_next_free_vgpr 151
		.amdhsa_next_free_sgpr 36
		.amdhsa_reserve_vcc 1
		.amdhsa_reserve_flat_scratch 0
		.amdhsa_float_round_mode_32 0
		.amdhsa_float_round_mode_16_64 0
		.amdhsa_float_denorm_mode_32 3
		.amdhsa_float_denorm_mode_16_64 3
		.amdhsa_dx10_clamp 1
		.amdhsa_ieee_mode 1
		.amdhsa_fp16_overflow 0
		.amdhsa_exception_fp_ieee_invalid_op 0
		.amdhsa_exception_fp_denorm_src 0
		.amdhsa_exception_fp_ieee_div_zero 0
		.amdhsa_exception_fp_ieee_overflow 0
		.amdhsa_exception_fp_ieee_underflow 0
		.amdhsa_exception_fp_ieee_inexact 0
		.amdhsa_exception_int_div_zero 0
	.end_amdhsa_kernel
	.text
.Lfunc_end0:
	.size	fft_rtc_back_len1485_factors_3_5_11_3_3_wgs_165_tpt_165_dp_ip_CI_unitstride_sbrr_dirReg, .Lfunc_end0-fft_rtc_back_len1485_factors_3_5_11_3_3_wgs_165_tpt_165_dp_ip_CI_unitstride_sbrr_dirReg
                                        ; -- End function
	.section	.AMDGPU.csdata,"",@progbits
; Kernel info:
; codeLenInByte = 8580
; NumSgprs: 40
; NumVgprs: 151
; ScratchSize: 0
; MemoryBound: 1
; FloatMode: 240
; IeeeMode: 1
; LDSByteSize: 0 bytes/workgroup (compile time only)
; SGPRBlocks: 4
; VGPRBlocks: 37
; NumSGPRsForWavesPerEU: 40
; NumVGPRsForWavesPerEU: 151
; Occupancy: 1
; WaveLimiterHint : 1
; COMPUTE_PGM_RSRC2:SCRATCH_EN: 0
; COMPUTE_PGM_RSRC2:USER_SGPR: 6
; COMPUTE_PGM_RSRC2:TRAP_HANDLER: 0
; COMPUTE_PGM_RSRC2:TGID_X_EN: 1
; COMPUTE_PGM_RSRC2:TGID_Y_EN: 0
; COMPUTE_PGM_RSRC2:TGID_Z_EN: 0
; COMPUTE_PGM_RSRC2:TIDIG_COMP_CNT: 0
	.type	__hip_cuid_996ff505e263929c,@object ; @__hip_cuid_996ff505e263929c
	.section	.bss,"aw",@nobits
	.globl	__hip_cuid_996ff505e263929c
__hip_cuid_996ff505e263929c:
	.byte	0                               ; 0x0
	.size	__hip_cuid_996ff505e263929c, 1

	.ident	"AMD clang version 19.0.0git (https://github.com/RadeonOpenCompute/llvm-project roc-6.4.0 25133 c7fe45cf4b819c5991fe208aaa96edf142730f1d)"
	.section	".note.GNU-stack","",@progbits
	.addrsig
	.addrsig_sym __hip_cuid_996ff505e263929c
	.amdgpu_metadata
---
amdhsa.kernels:
  - .args:
      - .actual_access:  read_only
        .address_space:  global
        .offset:         0
        .size:           8
        .value_kind:     global_buffer
      - .offset:         8
        .size:           8
        .value_kind:     by_value
      - .actual_access:  read_only
        .address_space:  global
        .offset:         16
        .size:           8
        .value_kind:     global_buffer
      - .actual_access:  read_only
        .address_space:  global
        .offset:         24
        .size:           8
        .value_kind:     global_buffer
      - .offset:         32
        .size:           8
        .value_kind:     by_value
      - .actual_access:  read_only
        .address_space:  global
        .offset:         40
        .size:           8
        .value_kind:     global_buffer
      - .actual_access:  read_only
        .address_space:  global
        .offset:         48
        .size:           8
        .value_kind:     global_buffer
      - .offset:         56
        .size:           4
        .value_kind:     by_value
      - .actual_access:  read_only
        .address_space:  global
        .offset:         64
        .size:           8
        .value_kind:     global_buffer
      - .actual_access:  read_only
        .address_space:  global
        .offset:         72
        .size:           8
        .value_kind:     global_buffer
      - .address_space:  global
        .offset:         80
        .size:           8
        .value_kind:     global_buffer
    .group_segment_fixed_size: 0
    .kernarg_segment_align: 8
    .kernarg_segment_size: 88
    .language:       OpenCL C
    .language_version:
      - 2
      - 0
    .max_flat_workgroup_size: 165
    .name:           fft_rtc_back_len1485_factors_3_5_11_3_3_wgs_165_tpt_165_dp_ip_CI_unitstride_sbrr_dirReg
    .private_segment_fixed_size: 0
    .sgpr_count:     40
    .sgpr_spill_count: 0
    .symbol:         fft_rtc_back_len1485_factors_3_5_11_3_3_wgs_165_tpt_165_dp_ip_CI_unitstride_sbrr_dirReg.kd
    .uniform_work_group_size: 1
    .uses_dynamic_stack: false
    .vgpr_count:     151
    .vgpr_spill_count: 0
    .wavefront_size: 64
amdhsa.target:   amdgcn-amd-amdhsa--gfx906
amdhsa.version:
  - 1
  - 2
...

	.end_amdgpu_metadata
